;; amdgpu-corpus repo=ROCm/rocFFT kind=compiled arch=gfx906 opt=O3
	.text
	.amdgcn_target "amdgcn-amd-amdhsa--gfx906"
	.amdhsa_code_object_version 6
	.protected	fft_rtc_back_len192_factors_6_4_4_2_wgs_128_tpt_16_halfLds_dp_ip_CI_sbrr_dirReg ; -- Begin function fft_rtc_back_len192_factors_6_4_4_2_wgs_128_tpt_16_halfLds_dp_ip_CI_sbrr_dirReg
	.globl	fft_rtc_back_len192_factors_6_4_4_2_wgs_128_tpt_16_halfLds_dp_ip_CI_sbrr_dirReg
	.p2align	8
	.type	fft_rtc_back_len192_factors_6_4_4_2_wgs_128_tpt_16_halfLds_dp_ip_CI_sbrr_dirReg,@function
fft_rtc_back_len192_factors_6_4_4_2_wgs_128_tpt_16_halfLds_dp_ip_CI_sbrr_dirReg: ; @fft_rtc_back_len192_factors_6_4_4_2_wgs_128_tpt_16_halfLds_dp_ip_CI_sbrr_dirReg
; %bb.0:
	s_load_dwordx2 s[14:15], s[4:5], 0x18
	s_load_dwordx4 s[8:11], s[4:5], 0x0
	s_load_dwordx2 s[12:13], s[4:5], 0x50
	v_lshrrev_b32_e32 v53, 4, v0
	v_mov_b32_e32 v3, 0
	s_waitcnt lgkmcnt(0)
	s_load_dwordx2 s[2:3], s[14:15], 0x0
	v_cmp_lt_u64_e64 s[0:1], s[10:11], 2
	v_mov_b32_e32 v1, 0
	v_lshl_or_b32 v5, s6, 3, v53
	v_mov_b32_e32 v6, v3
	s_and_b64 vcc, exec, s[0:1]
	v_mov_b32_e32 v2, 0
	s_cbranch_vccnz .LBB0_8
; %bb.1:
	s_load_dwordx2 s[0:1], s[4:5], 0x10
	s_add_u32 s6, s14, 8
	s_addc_u32 s7, s15, 0
	v_mov_b32_e32 v1, 0
	v_mov_b32_e32 v2, 0
	s_waitcnt lgkmcnt(0)
	s_add_u32 s16, s0, 8
	s_addc_u32 s17, s1, 0
	s_mov_b64 s[18:19], 1
.LBB0_2:                                ; =>This Inner Loop Header: Depth=1
	s_load_dwordx2 s[20:21], s[16:17], 0x0
                                        ; implicit-def: $vgpr7_vgpr8
	s_waitcnt lgkmcnt(0)
	v_or_b32_e32 v4, s21, v6
	v_cmp_ne_u64_e32 vcc, 0, v[3:4]
	s_and_saveexec_b64 s[0:1], vcc
	s_xor_b64 s[22:23], exec, s[0:1]
	s_cbranch_execz .LBB0_4
; %bb.3:                                ;   in Loop: Header=BB0_2 Depth=1
	v_cvt_f32_u32_e32 v4, s20
	v_cvt_f32_u32_e32 v7, s21
	s_sub_u32 s0, 0, s20
	s_subb_u32 s1, 0, s21
	v_mac_f32_e32 v4, 0x4f800000, v7
	v_rcp_f32_e32 v4, v4
	v_mul_f32_e32 v4, 0x5f7ffffc, v4
	v_mul_f32_e32 v7, 0x2f800000, v4
	v_trunc_f32_e32 v7, v7
	v_mac_f32_e32 v4, 0xcf800000, v7
	v_cvt_u32_f32_e32 v7, v7
	v_cvt_u32_f32_e32 v4, v4
	v_mul_lo_u32 v8, s0, v7
	v_mul_hi_u32 v9, s0, v4
	v_mul_lo_u32 v11, s1, v4
	v_mul_lo_u32 v10, s0, v4
	v_add_u32_e32 v8, v9, v8
	v_add_u32_e32 v8, v8, v11
	v_mul_hi_u32 v9, v4, v10
	v_mul_lo_u32 v11, v4, v8
	v_mul_hi_u32 v13, v4, v8
	v_mul_hi_u32 v12, v7, v10
	v_mul_lo_u32 v10, v7, v10
	v_mul_hi_u32 v14, v7, v8
	v_add_co_u32_e32 v9, vcc, v9, v11
	v_addc_co_u32_e32 v11, vcc, 0, v13, vcc
	v_mul_lo_u32 v8, v7, v8
	v_add_co_u32_e32 v9, vcc, v9, v10
	v_addc_co_u32_e32 v9, vcc, v11, v12, vcc
	v_addc_co_u32_e32 v10, vcc, 0, v14, vcc
	v_add_co_u32_e32 v8, vcc, v9, v8
	v_addc_co_u32_e32 v9, vcc, 0, v10, vcc
	v_add_co_u32_e32 v4, vcc, v4, v8
	v_addc_co_u32_e32 v7, vcc, v7, v9, vcc
	v_mul_lo_u32 v8, s0, v7
	v_mul_hi_u32 v9, s0, v4
	v_mul_lo_u32 v10, s1, v4
	v_mul_lo_u32 v11, s0, v4
	v_add_u32_e32 v8, v9, v8
	v_add_u32_e32 v8, v8, v10
	v_mul_lo_u32 v12, v4, v8
	v_mul_hi_u32 v13, v4, v11
	v_mul_hi_u32 v14, v4, v8
	;; [unrolled: 1-line block ×3, first 2 shown]
	v_mul_lo_u32 v11, v7, v11
	v_mul_hi_u32 v9, v7, v8
	v_add_co_u32_e32 v12, vcc, v13, v12
	v_addc_co_u32_e32 v13, vcc, 0, v14, vcc
	v_mul_lo_u32 v8, v7, v8
	v_add_co_u32_e32 v11, vcc, v12, v11
	v_addc_co_u32_e32 v10, vcc, v13, v10, vcc
	v_addc_co_u32_e32 v9, vcc, 0, v9, vcc
	v_add_co_u32_e32 v8, vcc, v10, v8
	v_addc_co_u32_e32 v9, vcc, 0, v9, vcc
	v_add_co_u32_e32 v4, vcc, v4, v8
	v_addc_co_u32_e32 v9, vcc, v7, v9, vcc
	v_mad_u64_u32 v[7:8], s[0:1], v5, v9, 0
	v_mul_hi_u32 v10, v5, v4
	v_add_co_u32_e32 v11, vcc, v10, v7
	v_addc_co_u32_e32 v12, vcc, 0, v8, vcc
	v_mad_u64_u32 v[7:8], s[0:1], v6, v4, 0
	v_mad_u64_u32 v[9:10], s[0:1], v6, v9, 0
	v_add_co_u32_e32 v4, vcc, v11, v7
	v_addc_co_u32_e32 v4, vcc, v12, v8, vcc
	v_addc_co_u32_e32 v7, vcc, 0, v10, vcc
	v_add_co_u32_e32 v4, vcc, v4, v9
	v_addc_co_u32_e32 v9, vcc, 0, v7, vcc
	v_mul_lo_u32 v10, s21, v4
	v_mul_lo_u32 v11, s20, v9
	v_mad_u64_u32 v[7:8], s[0:1], s20, v4, 0
	v_add3_u32 v8, v8, v11, v10
	v_sub_u32_e32 v10, v6, v8
	v_mov_b32_e32 v11, s21
	v_sub_co_u32_e32 v7, vcc, v5, v7
	v_subb_co_u32_e64 v10, s[0:1], v10, v11, vcc
	v_subrev_co_u32_e64 v11, s[0:1], s20, v7
	v_subbrev_co_u32_e64 v10, s[0:1], 0, v10, s[0:1]
	v_cmp_le_u32_e64 s[0:1], s21, v10
	v_cndmask_b32_e64 v12, 0, -1, s[0:1]
	v_cmp_le_u32_e64 s[0:1], s20, v11
	v_cndmask_b32_e64 v11, 0, -1, s[0:1]
	v_cmp_eq_u32_e64 s[0:1], s21, v10
	v_cndmask_b32_e64 v10, v12, v11, s[0:1]
	v_add_co_u32_e64 v11, s[0:1], 2, v4
	v_addc_co_u32_e64 v12, s[0:1], 0, v9, s[0:1]
	v_add_co_u32_e64 v13, s[0:1], 1, v4
	v_addc_co_u32_e64 v14, s[0:1], 0, v9, s[0:1]
	v_subb_co_u32_e32 v8, vcc, v6, v8, vcc
	v_cmp_ne_u32_e64 s[0:1], 0, v10
	v_cmp_le_u32_e32 vcc, s21, v8
	v_cndmask_b32_e64 v10, v14, v12, s[0:1]
	v_cndmask_b32_e64 v12, 0, -1, vcc
	v_cmp_le_u32_e32 vcc, s20, v7
	v_cndmask_b32_e64 v7, 0, -1, vcc
	v_cmp_eq_u32_e32 vcc, s21, v8
	v_cndmask_b32_e32 v7, v12, v7, vcc
	v_cmp_ne_u32_e32 vcc, 0, v7
	v_cndmask_b32_e64 v7, v13, v11, s[0:1]
	v_cndmask_b32_e32 v8, v9, v10, vcc
	v_cndmask_b32_e32 v7, v4, v7, vcc
.LBB0_4:                                ;   in Loop: Header=BB0_2 Depth=1
	s_andn2_saveexec_b64 s[0:1], s[22:23]
	s_cbranch_execz .LBB0_6
; %bb.5:                                ;   in Loop: Header=BB0_2 Depth=1
	v_cvt_f32_u32_e32 v4, s20
	s_sub_i32 s22, 0, s20
	v_rcp_iflag_f32_e32 v4, v4
	v_mul_f32_e32 v4, 0x4f7ffffe, v4
	v_cvt_u32_f32_e32 v4, v4
	v_mul_lo_u32 v7, s22, v4
	v_mul_hi_u32 v7, v4, v7
	v_add_u32_e32 v4, v4, v7
	v_mul_hi_u32 v4, v5, v4
	v_mul_lo_u32 v7, v4, s20
	v_add_u32_e32 v8, 1, v4
	v_sub_u32_e32 v7, v5, v7
	v_subrev_u32_e32 v9, s20, v7
	v_cmp_le_u32_e32 vcc, s20, v7
	v_cndmask_b32_e32 v7, v7, v9, vcc
	v_cndmask_b32_e32 v4, v4, v8, vcc
	v_add_u32_e32 v8, 1, v4
	v_cmp_le_u32_e32 vcc, s20, v7
	v_cndmask_b32_e32 v7, v4, v8, vcc
	v_mov_b32_e32 v8, v3
.LBB0_6:                                ;   in Loop: Header=BB0_2 Depth=1
	s_or_b64 exec, exec, s[0:1]
	v_mul_lo_u32 v4, v8, s20
	v_mul_lo_u32 v11, v7, s21
	v_mad_u64_u32 v[9:10], s[0:1], v7, s20, 0
	s_load_dwordx2 s[0:1], s[6:7], 0x0
	s_add_u32 s18, s18, 1
	v_add3_u32 v4, v10, v11, v4
	v_sub_co_u32_e32 v5, vcc, v5, v9
	v_subb_co_u32_e32 v4, vcc, v6, v4, vcc
	s_waitcnt lgkmcnt(0)
	v_mul_lo_u32 v4, s0, v4
	v_mul_lo_u32 v6, s1, v5
	v_mad_u64_u32 v[1:2], s[0:1], s0, v5, v[1:2]
	s_addc_u32 s19, s19, 0
	s_add_u32 s6, s6, 8
	v_add3_u32 v2, v6, v2, v4
	v_mov_b32_e32 v4, s10
	v_mov_b32_e32 v5, s11
	s_addc_u32 s7, s7, 0
	v_cmp_ge_u64_e32 vcc, s[18:19], v[4:5]
	s_add_u32 s16, s16, 8
	s_addc_u32 s17, s17, 0
	s_cbranch_vccnz .LBB0_9
; %bb.7:                                ;   in Loop: Header=BB0_2 Depth=1
	v_mov_b32_e32 v5, v7
	v_mov_b32_e32 v6, v8
	s_branch .LBB0_2
.LBB0_8:
	v_mov_b32_e32 v8, v6
	v_mov_b32_e32 v7, v5
.LBB0_9:
	s_lshl_b64 s[0:1], s[10:11], 3
	s_add_u32 s0, s14, s0
	s_addc_u32 s1, s15, s1
	s_load_dwordx2 s[6:7], s[0:1], 0x0
	s_load_dwordx2 s[10:11], s[4:5], 0x20
	v_and_b32_e32 v57, 15, v0
	v_or_b32_e32 v61, 16, v57
	v_or_b32_e32 v59, 48, v57
	s_waitcnt lgkmcnt(0)
	v_mul_lo_u32 v3, s6, v8
	v_mul_lo_u32 v4, s7, v7
	v_mad_u64_u32 v[1:2], s[0:1], s6, v7, v[1:2]
	v_cmp_gt_u64_e32 vcc, s[10:11], v[7:8]
	v_cmp_le_u64_e64 s[0:1], s[10:11], v[7:8]
	v_add3_u32 v2, v4, v2, v3
	v_or_b32_e32 v58, 64, v57
	v_or_b32_e32 v60, 32, v57
                                        ; implicit-def: $vgpr50
                                        ; implicit-def: $vgpr54
                                        ; implicit-def: $vgpr55
                                        ; implicit-def: $vgpr51
                                        ; implicit-def: $vgpr52
	s_and_saveexec_b64 s[4:5], s[0:1]
	s_xor_b64 s[0:1], exec, s[4:5]
; %bb.10:
	v_or_b32_e32 v50, 16, v57
	v_or_b32_e32 v54, 48, v57
	;; [unrolled: 1-line block ×5, first 2 shown]
; %bb.11:
	s_or_saveexec_b64 s[4:5], s[0:1]
	v_lshlrev_b64 v[48:49], 4, v[1:2]
                                        ; implicit-def: $vgpr42_vgpr43
                                        ; implicit-def: $vgpr46_vgpr47
                                        ; implicit-def: $vgpr26_vgpr27
                                        ; implicit-def: $vgpr10_vgpr11
                                        ; implicit-def: $vgpr18_vgpr19
                                        ; implicit-def: $vgpr2_vgpr3
                                        ; implicit-def: $vgpr6_vgpr7
                                        ; implicit-def: $vgpr14_vgpr15
                                        ; implicit-def: $vgpr22_vgpr23
                                        ; implicit-def: $vgpr34_vgpr35
                                        ; implicit-def: $vgpr38_vgpr39
                                        ; implicit-def: $vgpr30_vgpr31
	s_xor_b64 exec, exec, s[4:5]
	s_cbranch_execz .LBB0_13
; %bb.12:
	v_mad_u64_u32 v[0:1], s[0:1], s2, v57, 0
	v_mov_b32_e32 v4, s13
	v_or_b32_e32 v52, 0x50, v57
	v_mad_u64_u32 v[1:2], s[0:1], s3, v57, v[1:2]
	v_mad_u64_u32 v[2:3], s[0:1], s2, v60, 0
	v_add_co_u32_e64 v8, s[0:1], s12, v48
	v_addc_co_u32_e64 v9, s[0:1], v4, v49, s[0:1]
	v_mad_u64_u32 v[3:4], s[0:1], s3, v60, v[3:4]
	v_mad_u64_u32 v[4:5], s[0:1], s2, v58, 0
	v_lshlrev_b64 v[0:1], 4, v[0:1]
	v_add_co_u32_e64 v50, s[0:1], v8, v0
	v_addc_co_u32_e64 v51, s[0:1], v9, v1, s[0:1]
	v_lshlrev_b64 v[0:1], 4, v[2:3]
	v_mov_b32_e32 v2, v5
	v_mad_u64_u32 v[2:3], s[0:1], s3, v58, v[2:3]
	v_or_b32_e32 v3, 0x60, v57
	v_mad_u64_u32 v[6:7], s[0:1], s2, v3, 0
	v_add_co_u32_e64 v54, s[0:1], v8, v0
	v_mov_b32_e32 v5, v2
	v_mov_b32_e32 v2, v7
	v_addc_co_u32_e64 v55, s[0:1], v9, v1, s[0:1]
	v_lshlrev_b64 v[0:1], 4, v[4:5]
	v_mad_u64_u32 v[2:3], s[0:1], s3, v3, v[2:3]
	v_or_b32_e32 v5, 0x80, v57
	v_mad_u64_u32 v[3:4], s[0:1], s2, v5, 0
	v_add_co_u32_e64 v62, s[0:1], v8, v0
	v_mov_b32_e32 v7, v2
	v_mov_b32_e32 v2, v4
	v_addc_co_u32_e64 v63, s[0:1], v9, v1, s[0:1]
	v_lshlrev_b64 v[0:1], 4, v[6:7]
	v_mad_u64_u32 v[4:5], s[0:1], s3, v5, v[2:3]
	v_or_b32_e32 v7, 0xa0, v57
	v_mad_u64_u32 v[5:6], s[0:1], s2, v7, 0
	v_add_co_u32_e64 v64, s[0:1], v8, v0
	v_mov_b32_e32 v2, v6
	v_addc_co_u32_e64 v65, s[0:1], v9, v1, s[0:1]
	v_lshlrev_b64 v[0:1], 4, v[3:4]
	v_mad_u64_u32 v[2:3], s[0:1], s3, v7, v[2:3]
	v_mad_u64_u32 v[3:4], s[0:1], s2, v61, 0
	v_add_co_u32_e64 v66, s[0:1], v8, v0
	v_mov_b32_e32 v6, v2
	v_mov_b32_e32 v2, v4
	v_addc_co_u32_e64 v67, s[0:1], v9, v1, s[0:1]
	v_lshlrev_b64 v[0:1], 4, v[5:6]
	v_mad_u64_u32 v[4:5], s[0:1], s3, v61, v[2:3]
	v_mad_u64_u32 v[5:6], s[0:1], s2, v59, 0
	v_add_co_u32_e64 v68, s[0:1], v8, v0
	v_mov_b32_e32 v2, v6
	v_addc_co_u32_e64 v69, s[0:1], v9, v1, s[0:1]
	v_lshlrev_b64 v[0:1], 4, v[3:4]
	v_mad_u64_u32 v[2:3], s[0:1], s3, v59, v[2:3]
	v_mad_u64_u32 v[3:4], s[0:1], s2, v52, 0
	v_add_co_u32_e64 v70, s[0:1], v8, v0
	v_mov_b32_e32 v6, v2
	v_mov_b32_e32 v2, v4
	v_addc_co_u32_e64 v71, s[0:1], v9, v1, s[0:1]
	v_lshlrev_b64 v[0:1], 4, v[5:6]
	v_mad_u64_u32 v[4:5], s[0:1], s3, v52, v[2:3]
	v_or_b32_e32 v7, 0x70, v57
	v_mad_u64_u32 v[5:6], s[0:1], s2, v7, 0
	v_add_co_u32_e64 v72, s[0:1], v8, v0
	v_mov_b32_e32 v2, v6
	v_addc_co_u32_e64 v73, s[0:1], v9, v1, s[0:1]
	v_lshlrev_b64 v[0:1], 4, v[3:4]
	v_mad_u64_u32 v[2:3], s[0:1], s3, v7, v[2:3]
	v_or_b32_e32 v7, 0x90, v57
	v_mad_u64_u32 v[3:4], s[0:1], s2, v7, 0
	v_add_co_u32_e64 v74, s[0:1], v8, v0
	v_mov_b32_e32 v6, v2
	v_mov_b32_e32 v2, v4
	v_addc_co_u32_e64 v75, s[0:1], v9, v1, s[0:1]
	v_lshlrev_b64 v[0:1], 4, v[5:6]
	v_mad_u64_u32 v[4:5], s[0:1], s3, v7, v[2:3]
	v_or_b32_e32 v7, 0xb0, v57
	v_mad_u64_u32 v[5:6], s[0:1], s2, v7, 0
	v_add_co_u32_e64 v76, s[0:1], v8, v0
	v_mov_b32_e32 v2, v6
	v_addc_co_u32_e64 v77, s[0:1], v9, v1, s[0:1]
	v_lshlrev_b64 v[0:1], 4, v[3:4]
	v_mad_u64_u32 v[2:3], s[0:1], s3, v7, v[2:3]
	v_add_co_u32_e64 v78, s[0:1], v8, v0
	v_mov_b32_e32 v6, v2
	v_addc_co_u32_e64 v79, s[0:1], v9, v1, s[0:1]
	v_lshlrev_b64 v[0:1], 4, v[5:6]
	v_add_co_u32_e64 v80, s[0:1], v8, v0
	v_addc_co_u32_e64 v81, s[0:1], v9, v1, s[0:1]
	global_load_dwordx4 v[28:31], v[50:51], off
	global_load_dwordx4 v[40:43], v[54:55], off
	;; [unrolled: 1-line block ×12, first 2 shown]
	v_mov_b32_e32 v51, v60
	v_mov_b32_e32 v55, v58
	;; [unrolled: 1-line block ×4, first 2 shown]
.LBB0_13:
	s_or_b64 exec, exec, s[4:5]
	s_waitcnt vmcnt(6)
	v_add_f64 v[70:71], v[24:25], v[36:37]
	v_add_f64 v[72:73], v[26:27], v[38:39]
	;; [unrolled: 1-line block ×3, first 2 shown]
	s_mov_b32 s0, 0xe8584caa
	s_mov_b32 s1, 0xbfebb67a
	;; [unrolled: 1-line block ×4, first 2 shown]
	v_add_f64 v[62:63], v[44:45], v[28:29]
	v_fma_f64 v[70:71], v[70:71], -0.5, v[40:41]
	v_fma_f64 v[72:73], v[72:73], -0.5, v[42:43]
	v_add_f64 v[40:41], v[40:41], v[36:37]
	v_add_f64 v[36:37], v[36:37], -v[24:25]
	v_add_f64 v[64:65], v[46:47], v[30:31]
	v_add_f64 v[68:69], v[46:47], v[34:35]
	v_add_f64 v[46:47], v[46:47], -v[34:35]
	v_add_f64 v[42:43], v[42:43], v[38:39]
	v_add_f64 v[38:39], v[38:39], -v[26:27]
	v_fma_f64 v[28:29], v[66:67], -0.5, v[28:29]
	v_add_f64 v[44:45], v[44:45], -v[32:33]
	v_fma_f64 v[74:75], v[36:37], s[4:5], v[72:73]
	v_fma_f64 v[36:37], v[36:37], s[0:1], v[72:73]
	v_add_f64 v[32:33], v[32:33], v[62:63]
	v_add_f64 v[62:63], v[34:35], v[64:65]
	v_add_f64 v[40:41], v[24:25], v[40:41]
	v_fma_f64 v[68:69], v[68:69], -0.5, v[30:31]
	v_fma_f64 v[34:35], v[46:47], s[0:1], v[28:29]
	v_fma_f64 v[46:47], v[46:47], s[4:5], v[28:29]
	;; [unrolled: 1-line block ×3, first 2 shown]
	v_mul_f64 v[64:65], v[74:75], s[0:1]
	v_fma_f64 v[38:39], v[38:39], s[4:5], v[70:71]
	v_mul_f64 v[66:67], v[36:37], s[0:1]
	v_add_f64 v[42:43], v[26:27], v[42:43]
	v_add_f64 v[24:25], v[40:41], v[32:33]
	v_add_f64 v[30:31], v[32:33], -v[40:41]
	v_mul_f64 v[36:37], v[36:37], -0.5
	v_mul_f64 v[40:41], v[28:29], s[4:5]
	v_fma_f64 v[64:65], v[28:29], 0.5, v[64:65]
	s_waitcnt vmcnt(0)
	v_add_f64 v[76:77], v[16:17], -v[4:5]
	v_fma_f64 v[66:67], v[38:39], -0.5, v[66:67]
	v_add_f64 v[70:71], v[16:17], v[20:21]
	v_add_f64 v[80:81], v[14:15], -v[2:3]
	v_add_f64 v[72:73], v[18:19], v[22:23]
	s_movk_i32 s6, 0xffd8
	v_fma_f64 v[40:41], v[74:75], 0.5, v[40:41]
	v_add_f64 v[26:27], v[34:35], v[64:65]
	v_add_f64 v[32:33], v[34:35], -v[64:65]
	v_add_f64 v[64:65], v[18:19], v[6:7]
	v_add_f64 v[28:29], v[46:47], v[66:67]
	v_add_f64 v[34:35], v[46:47], -v[66:67]
	v_add_f64 v[46:47], v[16:17], v[4:5]
	v_fma_f64 v[66:67], v[44:45], s[4:5], v[68:69]
	v_fma_f64 v[44:45], v[44:45], s[0:1], v[68:69]
	;; [unrolled: 1-line block ×3, first 2 shown]
	v_add_f64 v[38:39], v[0:1], v[12:13]
	v_fma_f64 v[64:65], v[64:65], -0.5, v[22:23]
	v_add_f64 v[74:75], v[18:19], -v[6:7]
	v_add_f64 v[36:37], v[42:43], v[62:63]
	v_fma_f64 v[46:47], v[46:47], -0.5, v[20:21]
	v_add_f64 v[20:21], v[66:67], -v[40:41]
	v_add_f64 v[18:19], v[62:63], -v[42:43]
	v_add_f64 v[16:17], v[44:45], v[68:69]
	v_fma_f64 v[78:79], v[38:39], -0.5, v[8:9]
	v_add_f64 v[38:39], v[66:67], v[40:41]
	v_fma_f64 v[66:67], v[76:77], s[4:5], v[64:65]
	v_add_f64 v[22:23], v[44:45], -v[68:69]
	v_add_f64 v[8:9], v[8:9], v[12:13]
	v_fma_f64 v[76:77], v[76:77], s[0:1], v[64:65]
	v_add_f64 v[4:5], v[4:5], v[70:71]
	v_add_f64 v[6:7], v[6:7], v[72:73]
	v_fma_f64 v[62:63], v[80:81], s[0:1], v[78:79]
	v_fma_f64 v[68:69], v[80:81], s[4:5], v[78:79]
	;; [unrolled: 1-line block ×3, first 2 shown]
	v_mul_f64 v[40:41], v[66:67], s[0:1]
	v_fma_f64 v[74:75], v[74:75], s[4:5], v[46:47]
	v_add_f64 v[8:9], v[0:1], v[8:9]
	v_add_f64 v[0:1], v[12:13], -v[0:1]
	v_fma_f64 v[64:65], v[78:79], 0.5, v[40:41]
	v_mul_f64 v[40:41], v[76:77], s[0:1]
	v_add_f64 v[46:47], v[8:9], -v[4:5]
	v_add_f64 v[42:43], v[62:63], v[64:65]
	v_fma_f64 v[70:71], v[74:75], -0.5, v[40:41]
	v_add_f64 v[40:41], v[8:9], v[4:5]
	v_mul_u32_u24_e32 v4, 0xc0, v53
	v_lshlrev_b32_e32 v4, 3, v4
	v_mul_u32_u24_e32 v8, 6, v57
	v_add_u32_e32 v5, 0, v4
	v_lshl_add_u32 v53, v8, 3, v5
	ds_write_b128 v53, v[24:27]
	ds_write_b128 v53, v[28:31] offset:16
	ds_write_b128 v53, v[32:35] offset:32
	v_add_f64 v[32:33], v[2:3], v[14:15]
	v_add_f64 v[14:15], v[10:11], v[14:15]
	;; [unrolled: 1-line block ×3, first 2 shown]
	v_add_f64 v[62:63], v[62:63], -v[64:65]
	v_add_f64 v[64:65], v[68:69], -v[70:71]
	v_mul_i32_i24_e32 v8, 6, v50
	v_lshl_add_u32 v24, v8, 3, v5
	ds_write_b128 v24, v[40:43]
	ds_write_b128 v24, v[44:47] offset:16
	ds_write_b128 v24, v[62:65] offset:32
	v_fma_f64 v[9:10], v[32:33], -0.5, v[10:11]
	v_mul_f64 v[11:12], v[78:79], s[4:5]
	v_mul_f64 v[32:33], v[76:77], -0.5
	v_add_f64 v[13:14], v[2:3], v[14:15]
	v_lshlrev_b32_e32 v8, 3, v57
	v_add_u32_e32 v25, v5, v8
	v_lshl_add_u32 v26, v54, 3, v5
	v_mad_i32_i24 v29, v57, s6, v53
	v_fma_f64 v[44:45], v[0:1], s[4:5], v[9:10]
	v_fma_f64 v[46:47], v[66:67], 0.5, v[11:12]
	v_fma_f64 v[62:63], v[0:1], s[0:1], v[9:10]
	v_fma_f64 v[64:65], v[74:75], s[4:5], v[32:33]
	v_add_f64 v[32:33], v[13:14], v[6:7]
	v_add_f64 v[42:43], v[13:14], -v[6:7]
	v_mad_i32_i24 v27, v50, s6, v24
	v_lshl_add_u32 v30, v51, 3, v5
	s_waitcnt lgkmcnt(0)
	v_add_f64 v[34:35], v[44:45], v[46:47]
	v_add_f64 v[44:45], v[44:45], -v[46:47]
	v_add_f64 v[40:41], v[62:63], v[64:65]
	v_add_f64 v[46:47], v[62:63], -v[64:65]
	s_barrier
	v_lshl_add_u32 v28, v55, 3, v5
	v_lshl_add_u32 v31, v52, 3, v5
	ds_read_b64 v[68:69], v25
	ds_read_b64 v[70:71], v26
	;; [unrolled: 1-line block ×6, first 2 shown]
	ds_read2_b64 v[0:3], v29 offset0:96 offset1:112
	ds_read2_b64 v[9:12], v29 offset0:128 offset1:144
	;; [unrolled: 1-line block ×3, first 2 shown]
	s_waitcnt lgkmcnt(0)
	s_barrier
	ds_write_b128 v53, v[36:39]
	ds_write_b128 v53, v[16:19] offset:16
	ds_write_b128 v53, v[20:23] offset:32
	ds_write_b128 v24, v[32:35]
	ds_write_b128 v24, v[40:43] offset:16
	ds_write_b128 v24, v[44:47] offset:32
	v_mul_lo_u16_e32 v53, 43, v57
	v_mov_b32_e32 v6, 6
	v_mul_lo_u16_sdwa v6, v53, v6 dst_sel:DWORD dst_unused:UNUSED_PAD src0_sel:BYTE_1 src1_sel:DWORD
	v_sub_u16_e32 v56, v57, v6
	v_mul_lo_u16_e32 v6, 3, v56
	v_mov_b32_e32 v36, 4
	v_lshlrev_b32_sdwa v38, v36, v6 dst_sel:DWORD dst_unused:UNUSED_PAD src0_sel:DWORD src1_sel:BYTE_0
	s_waitcnt lgkmcnt(0)
	s_barrier
	global_load_dwordx4 v[13:16], v38, s[8:9] offset:16
	s_movk_i32 s0, 0xab
	v_mul_lo_u16_sdwa v6, v50, s0 dst_sel:DWORD dst_unused:UNUSED_PAD src0_sel:BYTE_0 src1_sel:DWORD
	v_lshrrev_b16_e32 v74, 10, v6
	v_mul_lo_u16_e32 v6, 6, v74
	v_sub_u16_e32 v75, v50, v6
	v_mul_lo_u16_e32 v6, 3, v75
	v_lshlrev_b32_sdwa v42, v36, v6 dst_sel:DWORD dst_unused:UNUSED_PAD src0_sel:DWORD src1_sel:BYTE_0
	global_load_dwordx4 v[17:20], v42, s[8:9] offset:16
	global_load_dwordx4 v[21:24], v38, s[8:9] offset:32
	ds_read2_b64 v[32:35], v29 offset0:96 offset1:112
	s_waitcnt vmcnt(2) lgkmcnt(0)
	v_mul_f64 v[6:7], v[32:33], v[15:16]
	v_mul_f64 v[15:16], v[0:1], v[15:16]
	v_fma_f64 v[6:7], v[0:1], v[13:14], v[6:7]
	s_waitcnt vmcnt(1)
	v_mul_f64 v[0:1], v[34:35], v[19:20]
	v_fma_f64 v[15:16], v[32:33], v[13:14], -v[15:16]
	v_mul_f64 v[13:14], v[2:3], v[19:20]
	v_fma_f64 v[19:20], v[2:3], v[17:18], v[0:1]
	ds_read2_b64 v[0:3], v29 offset0:128 offset1:144
	v_fma_f64 v[17:18], v[34:35], v[17:18], -v[13:14]
	s_waitcnt vmcnt(0) lgkmcnt(0)
	v_mul_f64 v[13:14], v[2:3], v[23:24]
	v_mul_f64 v[23:24], v[11:12], v[23:24]
	v_fma_f64 v[32:33], v[11:12], v[21:22], v[13:14]
	v_fma_f64 v[21:22], v[2:3], v[21:22], -v[23:24]
	v_mul_lo_u16_sdwa v2, v51, s0 dst_sel:DWORD dst_unused:UNUSED_PAD src0_sel:BYTE_0 src1_sel:DWORD
	v_lshrrev_b16_e32 v80, 10, v2
	v_mul_lo_u16_e32 v2, 6, v80
	v_sub_u16_e32 v81, v51, v2
	v_mul_lo_u16_e32 v2, 3, v81
	v_lshlrev_b32_sdwa v46, v36, v2 dst_sel:DWORD dst_unused:UNUSED_PAD src0_sel:DWORD src1_sel:BYTE_0
	global_load_dwordx4 v[11:14], v46, s[8:9] offset:16
	v_cmp_gt_u32_e64 s[0:1], 24, v50
	s_waitcnt vmcnt(0)
	v_mul_f64 v[2:3], v[0:1], v[13:14]
	v_fma_f64 v[23:24], v[9:10], v[11:12], v[2:3]
	v_mul_f64 v[2:3], v[9:10], v[13:14]
	v_add_f64 v[23:24], v[66:67], -v[23:24]
	v_fma_f64 v[13:14], v[0:1], v[11:12], -v[2:3]
	global_load_dwordx4 v[0:3], v42, s[8:9] offset:32
	ds_read2_b64 v[9:12], v29 offset0:160 offset1:176
	s_waitcnt vmcnt(0) lgkmcnt(0)
	v_mul_f64 v[34:35], v[9:10], v[2:3]
	v_mul_f64 v[2:3], v[62:63], v[2:3]
	v_fma_f64 v[34:35], v[62:63], v[0:1], v[34:35]
	v_fma_f64 v[9:10], v[9:10], v[0:1], -v[2:3]
	global_load_dwordx4 v[0:3], v46, s[8:9] offset:32
	s_waitcnt vmcnt(0)
	v_mul_f64 v[36:37], v[11:12], v[2:3]
	v_mul_f64 v[2:3], v[64:65], v[2:3]
	v_fma_f64 v[36:37], v[64:65], v[0:1], v[36:37]
	v_fma_f64 v[11:12], v[11:12], v[0:1], -v[2:3]
	global_load_dwordx4 v[0:3], v38, s[8:9]
	ds_read_b64 v[38:39], v26
	v_mov_b32_e32 v64, 24
	v_mul_lo_u16_sdwa v53, v53, v64 dst_sel:DWORD dst_unused:UNUSED_PAD src0_sel:BYTE_1 src1_sel:DWORD
	ds_read_b64 v[64:65], v27
	v_or_b32_e32 v53, v53, v56
	v_and_b32_e32 v53, 0xff, v53
	v_lshl_add_u32 v53, v53, 3, v5
	v_mul_lo_u16_e32 v56, 24, v74
	v_or_b32_e32 v56, v56, v75
	v_and_b32_e32 v56, 0xff, v56
	v_lshl_add_u32 v56, v56, 3, v5
	s_waitcnt vmcnt(0) lgkmcnt(1)
	v_mul_f64 v[40:41], v[38:39], v[2:3]
	v_mul_f64 v[2:3], v[70:71], v[2:3]
	v_fma_f64 v[40:41], v[70:71], v[0:1], v[40:41]
	v_fma_f64 v[38:39], v[38:39], v[0:1], -v[2:3]
	global_load_dwordx4 v[0:3], v42, s[8:9]
	ds_read_b64 v[42:43], v28
	v_add_f64 v[21:22], v[38:39], -v[21:22]
	s_waitcnt vmcnt(0) lgkmcnt(0)
	v_mul_f64 v[44:45], v[42:43], v[2:3]
	v_mul_f64 v[2:3], v[78:79], v[2:3]
	v_fma_f64 v[44:45], v[78:79], v[0:1], v[44:45]
	v_fma_f64 v[42:43], v[42:43], v[0:1], -v[2:3]
	global_load_dwordx4 v[0:3], v46, s[8:9]
	ds_read_b64 v[46:47], v31
	v_add_f64 v[9:10], v[42:43], -v[9:10]
	s_waitcnt vmcnt(0) lgkmcnt(0)
	v_mul_f64 v[62:63], v[46:47], v[2:3]
	v_mul_f64 v[2:3], v[72:73], v[2:3]
	v_fma_f64 v[62:63], v[72:73], v[0:1], v[62:63]
	v_fma_f64 v[0:1], v[46:47], v[0:1], -v[2:3]
	v_add_f64 v[2:3], v[68:69], -v[6:7]
	v_add_f64 v[6:7], v[40:41], -v[32:33]
	;; [unrolled: 1-line block ×4, first 2 shown]
	v_fma_f64 v[32:33], v[68:69], 2.0, -v[2:3]
	v_fma_f64 v[40:41], v[40:41], 2.0, -v[6:7]
	v_add_f64 v[46:47], v[2:3], v[21:22]
	ds_read_b64 v[68:69], v25
	ds_read_b64 v[70:71], v30
	s_waitcnt lgkmcnt(0)
	s_barrier
	v_add_f64 v[15:16], v[68:69], -v[15:16]
	v_fma_f64 v[21:22], v[38:39], 2.0, -v[21:22]
	v_add_f64 v[40:41], v[32:33], -v[40:41]
	v_fma_f64 v[2:3], v[2:3], 2.0, -v[46:47]
	v_fma_f64 v[0:1], v[0:1], 2.0, -v[11:12]
	;; [unrolled: 1-line block ×3, first 2 shown]
	v_add_f64 v[6:7], v[15:16], -v[6:7]
	v_fma_f64 v[32:33], v[32:33], 2.0, -v[40:41]
	ds_write2_b64 v53, v[40:41], v[46:47] offset0:12 offset1:18
	v_fma_f64 v[46:47], v[62:63], 2.0, -v[36:37]
	v_add_f64 v[62:63], v[23:24], v[11:12]
	v_add_f64 v[21:22], v[38:39], -v[21:22]
	ds_write2_b64 v53, v[32:33], v[2:3] offset1:6
	v_add_f64 v[2:3], v[76:77], -v[19:20]
	v_add_f64 v[19:20], v[44:45], -v[34:35]
	v_fma_f64 v[32:33], v[76:77], 2.0, -v[2:3]
	v_fma_f64 v[34:35], v[44:45], 2.0, -v[19:20]
	v_add_f64 v[40:41], v[2:3], v[9:10]
	v_fma_f64 v[44:45], v[66:67], 2.0, -v[23:24]
	v_fma_f64 v[23:24], v[23:24], 2.0, -v[62:63]
	v_add_f64 v[34:35], v[32:33], -v[34:35]
	v_fma_f64 v[2:3], v[2:3], 2.0, -v[40:41]
	v_add_f64 v[46:47], v[44:45], -v[46:47]
	v_fma_f64 v[32:33], v[32:33], 2.0, -v[34:35]
	ds_write2_b64 v56, v[32:33], v[2:3] offset1:6
	ds_write2_b64 v56, v[34:35], v[40:41] offset0:12 offset1:18
	v_fma_f64 v[2:3], v[44:45], 2.0, -v[46:47]
	v_mul_lo_u16_e32 v32, 24, v80
	v_or_b32_e32 v40, v32, v81
	v_fma_f64 v[32:33], v[38:39], 2.0, -v[21:22]
	v_fma_f64 v[34:35], v[15:16], 2.0, -v[6:7]
	v_and_b32_e32 v15, 0xff, v40
	v_add_f64 v[38:39], v[64:65], -v[17:18]
	v_lshl_add_u32 v72, v15, 3, v5
	ds_write2_b64 v72, v[2:3], v[23:24] offset1:6
	v_add_f64 v[23:24], v[70:71], -v[13:14]
	v_fma_f64 v[2:3], v[42:43], 2.0, -v[9:10]
	ds_write2_b64 v72, v[46:47], v[62:63] offset0:12 offset1:18
	s_waitcnt lgkmcnt(0)
	s_barrier
	v_fma_f64 v[9:10], v[64:65], 2.0, -v[38:39]
	v_add_f64 v[42:43], v[38:39], -v[19:20]
	v_fma_f64 v[11:12], v[70:71], 2.0, -v[23:24]
	v_add_f64 v[36:37], v[23:24], -v[36:37]
	ds_read_b64 v[44:45], v25
	ds_read_b64 v[46:47], v26
	;; [unrolled: 1-line block ×5, first 2 shown]
	v_add_f64 v[40:41], v[9:10], -v[2:3]
	v_fma_f64 v[38:39], v[38:39], 2.0, -v[42:43]
	v_add_f64 v[68:69], v[11:12], -v[0:1]
	v_fma_f64 v[23:24], v[23:24], 2.0, -v[36:37]
	ds_read_b64 v[70:71], v31
	ds_read2_b64 v[0:3], v29 offset0:96 offset1:112
	ds_read2_b64 v[13:16], v29 offset0:128 offset1:144
	;; [unrolled: 1-line block ×3, first 2 shown]
	s_waitcnt lgkmcnt(0)
	s_barrier
	v_fma_f64 v[9:10], v[9:10], 2.0, -v[40:41]
	v_fma_f64 v[11:12], v[11:12], 2.0, -v[68:69]
	ds_write2_b64 v53, v[32:33], v[34:35] offset1:6
	ds_write2_b64 v53, v[21:22], v[6:7] offset0:12 offset1:18
	ds_write2_b64 v56, v[9:10], v[38:39] offset1:6
	ds_write2_b64 v56, v[40:41], v[42:43] offset0:12 offset1:18
	;; [unrolled: 2-line block ×3, first 2 shown]
	v_mul_u32_u24_e32 v6, 3, v57
	v_lshlrev_b32_e32 v53, 4, v6
	s_waitcnt lgkmcnt(0)
	s_barrier
	global_load_dwordx4 v[21:24], v53, s[8:9] offset:304
	v_add_u32_e32 v6, -8, v57
	v_cndmask_b32_e64 v56, v6, v50, s[0:1]
	v_mul_i32_i24_e32 v11, 3, v56
	v_mov_b32_e32 v12, 0
	v_lshlrev_b64 v[6:7], 4, v[11:12]
	v_mov_b32_e32 v9, s9
	v_add_co_u32_e64 v6, s[0:1], s8, v6
	v_addc_co_u32_e64 v7, s[0:1], v9, v7, s[0:1]
	global_load_dwordx4 v[32:35], v[6:7], off offset:304
	global_load_dwordx4 v[36:39], v53, s[8:9] offset:320
	ds_read2_b64 v[40:43], v29 offset0:96 offset1:112
	v_mov_b32_e32 v11, 0x60
	v_cmp_lt_u32_e64 s[0:1], 23, v50
	v_cndmask_b32_e64 v11, 0, v11, s[0:1]
	v_or_b32_e32 v11, v11, v56
	v_add3_u32 v56, 0, v8, v4
	s_waitcnt vmcnt(2) lgkmcnt(0)
	v_mul_f64 v[9:10], v[40:41], v[23:24]
	v_mul_f64 v[23:24], v[0:1], v[23:24]
	v_fma_f64 v[9:10], v[0:1], v[21:22], v[9:10]
	v_fma_f64 v[40:41], v[40:41], v[21:22], -v[23:24]
	s_waitcnt vmcnt(1)
	v_mul_f64 v[68:69], v[42:43], v[34:35]
	v_mul_f64 v[21:22], v[2:3], v[34:35]
	s_waitcnt vmcnt(0)
	v_mul_f64 v[34:35], v[15:16], v[38:39]
	v_add_f64 v[9:10], v[44:45], -v[9:10]
	v_fma_f64 v[68:69], v[2:3], v[32:33], v[68:69]
	global_load_dwordx4 v[0:3], v53, s[8:9] offset:688
	v_fma_f64 v[42:43], v[42:43], v[32:33], -v[21:22]
	ds_read2_b64 v[21:24], v29 offset0:128 offset1:144
	v_fma_f64 v[44:45], v[44:45], 2.0, -v[9:10]
	s_waitcnt lgkmcnt(0)
	v_mul_f64 v[32:33], v[23:24], v[38:39]
	v_fma_f64 v[23:24], v[23:24], v[36:37], -v[34:35]
	v_fma_f64 v[38:39], v[15:16], v[36:37], v[32:33]
	global_load_dwordx4 v[32:35], v[6:7], off offset:320
	s_waitcnt vmcnt(1)
	v_mul_f64 v[15:16], v[21:22], v[2:3]
	v_mul_f64 v[2:3], v[13:14], v[2:3]
	v_fma_f64 v[36:37], v[13:14], v[0:1], v[15:16]
	v_fma_f64 v[21:22], v[21:22], v[0:1], -v[2:3]
	ds_read2_b64 v[0:3], v29 offset0:160 offset1:176
	s_waitcnt vmcnt(0) lgkmcnt(0)
	v_mul_f64 v[13:14], v[0:1], v[34:35]
	v_mul_f64 v[15:16], v[17:18], v[34:35]
	v_fma_f64 v[17:18], v[17:18], v[32:33], v[13:14]
	v_fma_f64 v[32:33], v[0:1], v[32:33], -v[15:16]
	global_load_dwordx4 v[13:16], v53, s[8:9] offset:704
	s_waitcnt vmcnt(0)
	v_mul_f64 v[0:1], v[2:3], v[15:16]
	v_fma_f64 v[34:35], v[19:20], v[13:14], v[0:1]
	v_mul_f64 v[0:1], v[19:20], v[15:16]
	v_fma_f64 v[19:20], v[2:3], v[13:14], -v[0:1]
	global_load_dwordx4 v[0:3], v53, s[8:9] offset:288
	global_load_dwordx4 v[13:16], v[6:7], off offset:288
	ds_read_b64 v[6:7], v26
	s_waitcnt vmcnt(1) lgkmcnt(0)
	v_mul_f64 v[72:73], v[6:7], v[2:3]
	v_mul_f64 v[2:3], v[46:47], v[2:3]
	v_fma_f64 v[72:73], v[46:47], v[0:1], v[72:73]
	v_fma_f64 v[6:7], v[6:7], v[0:1], -v[2:3]
	ds_read_b64 v[0:1], v28
	s_waitcnt vmcnt(0) lgkmcnt(0)
	v_mul_f64 v[2:3], v[0:1], v[15:16]
	v_mul_f64 v[15:16], v[64:65], v[15:16]
	v_add_f64 v[38:39], v[72:73], -v[38:39]
	v_add_f64 v[23:24], v[6:7], -v[23:24]
	v_fma_f64 v[46:47], v[64:65], v[13:14], v[2:3]
	v_fma_f64 v[13:14], v[0:1], v[13:14], -v[15:16]
	global_load_dwordx4 v[0:3], v53, s[8:9] offset:672
	ds_read_b64 v[15:16], v31
	v_fma_f64 v[6:7], v[6:7], 2.0, -v[23:24]
	v_lshl_add_u32 v53, v11, 3, v5
	v_add_f64 v[32:33], v[13:14], -v[32:33]
	s_waitcnt vmcnt(0) lgkmcnt(0)
	v_mul_f64 v[64:65], v[15:16], v[2:3]
	v_mul_f64 v[2:3], v[70:71], v[2:3]
	v_fma_f64 v[64:65], v[70:71], v[0:1], v[64:65]
	v_fma_f64 v[70:71], v[72:73], 2.0, -v[38:39]
	v_fma_f64 v[0:1], v[15:16], v[0:1], -v[2:3]
	v_add_f64 v[15:16], v[9:10], v[23:24]
	v_add_f64 v[34:35], v[64:65], -v[34:35]
	v_add_f64 v[2:3], v[44:45], -v[70:71]
	ds_read_b64 v[70:71], v27
	ds_read_b64 v[72:73], v25
	;; [unrolled: 1-line block ×3, first 2 shown]
	v_fma_f64 v[9:10], v[9:10], 2.0, -v[15:16]
	s_waitcnt lgkmcnt(0)
	s_barrier
	v_add_f64 v[40:41], v[72:73], -v[40:41]
	v_fma_f64 v[64:65], v[64:65], 2.0, -v[34:35]
	v_fma_f64 v[44:45], v[44:45], 2.0, -v[2:3]
	ds_write2_b64 v29, v[2:3], v[15:16] offset0:48 offset1:72
	v_add_f64 v[15:16], v[0:1], -v[19:20]
	v_add_f64 v[42:43], v[70:71], -v[42:43]
	;; [unrolled: 1-line block ×3, first 2 shown]
	ds_write2_b64 v29, v[44:45], v[9:10] offset1:24
	v_add_f64 v[9:10], v[62:63], -v[68:69]
	v_add_f64 v[44:45], v[46:47], -v[17:18]
	;; [unrolled: 1-line block ×3, first 2 shown]
	v_fma_f64 v[0:1], v[0:1], 2.0, -v[15:16]
	v_fma_f64 v[36:37], v[62:63], 2.0, -v[9:10]
	;; [unrolled: 1-line block ×3, first 2 shown]
	v_add_f64 v[19:20], v[9:10], v[32:33]
	v_fma_f64 v[62:63], v[66:67], 2.0, -v[17:18]
	v_add_f64 v[44:45], v[42:43], -v[44:45]
	v_add_f64 v[2:3], v[36:37], -v[46:47]
	v_fma_f64 v[46:47], v[72:73], 2.0, -v[40:41]
	v_fma_f64 v[9:10], v[9:10], 2.0, -v[19:20]
	v_add_f64 v[23:24], v[62:63], -v[64:65]
	v_add_f64 v[64:65], v[17:18], v[15:16]
	v_fma_f64 v[40:41], v[40:41], 2.0, -v[38:39]
	v_fma_f64 v[36:37], v[36:37], 2.0, -v[2:3]
	v_add_f64 v[66:67], v[46:47], -v[6:7]
	ds_write2_b64 v53, v[36:37], v[9:10] offset1:24
	ds_write2_b64 v53, v[2:3], v[19:20] offset0:48 offset1:72
	v_fma_f64 v[36:37], v[46:47], 2.0, -v[66:67]
	v_add_f64 v[46:47], v[74:75], -v[21:22]
	v_fma_f64 v[6:7], v[62:63], 2.0, -v[23:24]
	v_fma_f64 v[2:3], v[13:14], 2.0, -v[32:33]
	v_fma_f64 v[32:33], v[70:71], 2.0, -v[42:43]
	v_fma_f64 v[17:18], v[17:18], 2.0, -v[64:65]
	v_fma_f64 v[42:43], v[42:43], 2.0, -v[44:45]
	v_fma_f64 v[62:63], v[74:75], 2.0, -v[46:47]
	ds_write_b64 v29, v[6:7] offset:832
	ds_write_b64 v56, v[64:65] offset:1408
	v_add_f64 v[64:65], v[32:33], -v[2:3]
	v_add_f64 v[34:35], v[46:47], -v[34:35]
	ds_write2_b64 v56, v[17:18], v[23:24] offset0:128 offset1:152
	s_waitcnt lgkmcnt(0)
	s_barrier
	v_add_f64 v[68:69], v[62:63], -v[0:1]
	ds_read_b64 v[21:22], v25
	ds_read_b64 v[19:20], v28
	;; [unrolled: 1-line block ×6, first 2 shown]
	ds_read2_b64 v[0:3], v29 offset0:96 offset1:112
	ds_read2_b64 v[4:7], v29 offset0:128 offset1:144
	;; [unrolled: 1-line block ×3, first 2 shown]
	v_fma_f64 v[32:33], v[32:33], 2.0, -v[64:65]
	v_fma_f64 v[46:47], v[46:47], 2.0, -v[34:35]
	v_fma_f64 v[62:63], v[62:63], 2.0, -v[68:69]
	s_waitcnt lgkmcnt(0)
	s_barrier
	ds_write2_b64 v29, v[36:37], v[40:41] offset1:24
	ds_write2_b64 v29, v[66:67], v[38:39] offset0:48 offset1:72
	ds_write2_b64 v53, v[32:33], v[42:43] offset1:24
	ds_write2_b64 v53, v[64:65], v[44:45] offset0:48 offset1:72
	ds_write_b64 v29, v[62:63] offset:832
	ds_write2_b64 v56, v[46:47], v[68:69] offset0:128 offset1:152
	ds_write_b64 v56, v[34:35] offset:1408
	s_waitcnt lgkmcnt(0)
	s_barrier
	s_and_saveexec_b64 s[0:1], vcc
	s_cbranch_execz .LBB0_15
; %bb.14:
	v_mov_b32_e32 v53, v12
	v_lshlrev_b64 v[32:33], 4, v[52:53]
	v_mov_b32_e32 v62, s9
	v_add_co_u32_e32 v32, vcc, s8, v32
	v_addc_co_u32_e32 v33, vcc, v62, v33, vcc
	v_mov_b32_e32 v56, v12
	global_load_dwordx4 v[32:35], v[32:33], off offset:1440
	v_lshlrev_b64 v[36:37], 4, v[55:56]
	v_mov_b32_e32 v55, v12
	v_add_co_u32_e32 v36, vcc, s8, v36
	v_addc_co_u32_e32 v37, vcc, v62, v37, vcc
	global_load_dwordx4 v[36:39], v[36:37], off offset:1440
	v_lshlrev_b32_e32 v40, 4, v57
	v_lshlrev_b64 v[44:45], 4, v[54:55]
	global_load_dwordx4 v[40:43], v40, s[8:9] offset:1440
	v_add_co_u32_e32 v44, vcc, s8, v44
	v_mov_b32_e32 v52, v12
	v_addc_co_u32_e32 v45, vcc, v62, v45, vcc
	global_load_dwordx4 v[44:47], v[44:45], off offset:1440
	v_lshlrev_b64 v[51:52], 4, v[51:52]
	ds_read2_b64 v[66:69], v29 offset0:160 offset1:176
	v_add_co_u32_e32 v51, vcc, s8, v51
	v_addc_co_u32_e32 v52, vcc, v62, v52, vcc
	global_load_dwordx4 v[52:55], v[51:52], off offset:1440
	v_mov_b32_e32 v51, v12
	v_lshlrev_b64 v[50:51], 4, v[50:51]
	v_mov_b32_e32 v12, s13
	v_add_co_u32_e32 v50, vcc, s8, v50
	v_addc_co_u32_e32 v51, vcc, v62, v51, vcc
	global_load_dwordx4 v[62:65], v[50:51], off offset:1440
	ds_read2_b64 v[70:73], v29 offset0:128 offset1:144
	ds_read_b64 v[76:77], v31
	ds_read_b64 v[78:79], v30
	v_add_co_u32_e32 v56, vcc, s12, v48
	v_addc_co_u32_e32 v80, vcc, v12, v49, vcc
	s_waitcnt vmcnt(5)
	v_mul_f64 v[50:51], v[10:11], v[34:35]
	s_waitcnt lgkmcnt(3)
	v_mul_f64 v[34:35], v[68:69], v[34:35]
	s_waitcnt vmcnt(4)
	v_mul_f64 v[74:75], v[8:9], v[38:39]
	v_mul_f64 v[38:39], v[66:67], v[38:39]
	v_fma_f64 v[50:51], v[68:69], v[32:33], -v[50:51]
	v_fma_f64 v[10:11], v[10:11], v[32:33], v[34:35]
	ds_read2_b64 v[29:32], v29 offset0:96 offset1:112
	s_waitcnt vmcnt(3)
	v_mul_f64 v[68:69], v[0:1], v[42:43]
	v_fma_f64 v[33:34], v[66:67], v[36:37], -v[74:75]
	v_fma_f64 v[8:9], v[8:9], v[36:37], v[38:39]
	s_waitcnt lgkmcnt(0)
	v_mul_f64 v[35:36], v[29:30], v[42:43]
	s_waitcnt vmcnt(2)
	v_mul_f64 v[37:38], v[6:7], v[46:47]
	v_mul_f64 v[42:43], v[72:73], v[46:47]
	v_fma_f64 v[29:30], v[29:30], v[40:41], -v[68:69]
	v_mad_u64_u32 v[66:67], s[0:1], s2, v57, 0
	s_waitcnt vmcnt(1)
	v_mul_f64 v[46:47], v[4:5], v[54:55]
	v_add_f64 v[8:9], v[19:20], -v[8:9]
	v_fma_f64 v[0:1], v[0:1], v[40:41], v[35:36]
	ds_read_b64 v[48:49], v28
	ds_read_b64 v[68:69], v27
	;; [unrolled: 1-line block ×4, first 2 shown]
	v_mul_f64 v[27:28], v[70:71], v[54:55]
	v_fma_f64 v[25:26], v[72:73], v[44:45], -v[37:38]
	v_fma_f64 v[35:36], v[6:7], v[44:45], v[42:43]
	v_mov_b32_e32 v6, v67
	s_waitcnt vmcnt(0)
	v_mul_f64 v[43:44], v[31:32], v[64:65]
	v_fma_f64 v[37:38], v[70:71], v[52:53], -v[46:47]
	v_mul_f64 v[41:42], v[2:3], v[64:65]
	v_add_f64 v[0:1], v[21:22], -v[0:1]
	v_fma_f64 v[45:46], v[4:5], v[52:53], v[27:28]
	v_add_f64 v[4:5], v[23:24], -v[10:11]
	s_waitcnt lgkmcnt(3)
	v_add_f64 v[10:11], v[48:49], -v[33:34]
	v_mad_u64_u32 v[6:7], s[0:1], s3, v57, v[6:7]
	v_fma_f64 v[43:44], v[2:3], v[62:63], v[43:44]
	s_waitcnt lgkmcnt(0)
	v_add_f64 v[2:3], v[39:40], -v[29:30]
	v_fma_f64 v[41:42], v[31:32], v[62:63], -v[41:42]
	v_add_f64 v[29:30], v[15:16], -v[45:46]
	v_or_b32_e32 v70, 0x60, v57
	v_mad_u64_u32 v[54:55], s[0:1], s2, v70, 0
	v_add_f64 v[31:32], v[78:79], -v[37:38]
	v_add_f64 v[33:34], v[13:14], -v[43:44]
	v_fma_f64 v[39:40], v[39:40], 2.0, -v[2:3]
	v_fma_f64 v[37:38], v[21:22], 2.0, -v[0:1]
	;; [unrolled: 1-line block ×3, first 2 shown]
	v_mov_b32_e32 v67, v6
	v_lshlrev_b64 v[64:65], 4, v[66:67]
	v_add_f64 v[27:28], v[74:75], -v[25:26]
	v_add_f64 v[25:26], v[17:18], -v[35:36]
	;; [unrolled: 1-line block ×3, first 2 shown]
	v_fma_f64 v[41:42], v[23:24], 2.0, -v[4:5]
	v_mov_b32_e32 v12, v55
	v_mad_u64_u32 v[23:24], s[0:1], s2, v61, 0
	v_add_f64 v[6:7], v[76:77], -v[50:51]
	v_fma_f64 v[21:22], v[48:49], 2.0, -v[10:11]
	v_fma_f64 v[49:50], v[13:14], 2.0, -v[33:34]
	v_mad_u64_u32 v[12:13], s[0:1], s3, v70, v[12:13]
	v_add_co_u32_e32 v13, vcc, v56, v64
	v_addc_co_u32_e32 v14, vcc, v80, v65, vcc
	global_store_dwordx4 v[13:14], v[37:40], off
	v_mov_b32_e32 v14, v24
	v_mov_b32_e32 v55, v12
	v_mad_u64_u32 v[37:38], s[0:1], s3, v61, v[14:15]
	v_or_b32_e32 v14, 0x70, v57
	v_lshlrev_b64 v[12:13], 4, v[54:55]
	v_mad_u64_u32 v[38:39], s[0:1], s2, v14, 0
	v_add_co_u32_e32 v12, vcc, v56, v12
	v_addc_co_u32_e32 v13, vcc, v80, v13, vcc
	global_store_dwordx4 v[12:13], v[0:3], off
	v_fma_f64 v[51:52], v[68:69], 2.0, -v[35:36]
	v_mov_b32_e32 v2, v39
	v_mad_u64_u32 v[2:3], s[0:1], s3, v14, v[2:3]
	v_mov_b32_e32 v24, v37
	v_lshlrev_b64 v[0:1], 4, v[23:24]
	v_mov_b32_e32 v39, v2
	v_mad_u64_u32 v[2:3], s[0:1], s2, v60, 0
	v_add_co_u32_e32 v0, vcc, v56, v0
	v_addc_co_u32_e32 v1, vcc, v80, v1, vcc
	v_mad_u64_u32 v[12:13], s[0:1], s3, v60, v[3:4]
	v_or_b32_e32 v23, 0x80, v57
	global_store_dwordx4 v[0:1], v[49:52], off
	v_lshlrev_b64 v[0:1], 4, v[38:39]
	v_mad_u64_u32 v[13:14], s[0:1], s2, v23, 0
	v_add_co_u32_e32 v0, vcc, v56, v0
	v_addc_co_u32_e32 v1, vcc, v80, v1, vcc
	v_mov_b32_e32 v3, v12
	global_store_dwordx4 v[0:1], v[33:36], off
	v_lshlrev_b64 v[0:1], 4, v[2:3]
	v_mov_b32_e32 v2, v14
	v_fma_f64 v[45:46], v[17:18], 2.0, -v[25:26]
	v_fma_f64 v[17:18], v[78:79], 2.0, -v[31:32]
	v_mad_u64_u32 v[2:3], s[0:1], s3, v23, v[2:3]
	v_add_co_u32_e32 v0, vcc, v56, v0
	v_mov_b32_e32 v14, v2
	v_mad_u64_u32 v[2:3], s[0:1], s2, v59, 0
	v_addc_co_u32_e32 v1, vcc, v80, v1, vcc
	global_store_dwordx4 v[0:1], v[15:18], off
	v_lshlrev_b64 v[0:1], 4, v[13:14]
	v_mad_u64_u32 v[12:13], s[0:1], s3, v59, v[3:4]
	v_or_b32_e32 v15, 0x90, v57
	v_mad_u64_u32 v[13:14], s[0:1], s2, v15, 0
	v_add_co_u32_e32 v0, vcc, v56, v0
	v_addc_co_u32_e32 v1, vcc, v80, v1, vcc
	v_mov_b32_e32 v3, v12
	global_store_dwordx4 v[0:1], v[29:32], off
	v_lshlrev_b64 v[0:1], 4, v[2:3]
	v_mov_b32_e32 v2, v14
	v_fma_f64 v[47:48], v[74:75], 2.0, -v[27:28]
	v_mad_u64_u32 v[2:3], s[0:1], s3, v15, v[2:3]
	v_add_co_u32_e32 v0, vcc, v56, v0
	v_mov_b32_e32 v14, v2
	v_mad_u64_u32 v[2:3], s[0:1], s2, v58, 0
	v_addc_co_u32_e32 v1, vcc, v80, v1, vcc
	global_store_dwordx4 v[0:1], v[45:48], off
	v_lshlrev_b64 v[0:1], 4, v[13:14]
	v_mad_u64_u32 v[12:13], s[0:1], s3, v58, v[3:4]
	v_or_b32_e32 v15, 0xa0, v57
	v_mad_u64_u32 v[13:14], s[0:1], s2, v15, 0
	v_add_co_u32_e32 v0, vcc, v56, v0
	v_addc_co_u32_e32 v1, vcc, v80, v1, vcc
	v_mov_b32_e32 v3, v12
	global_store_dwordx4 v[0:1], v[25:28], off
	v_lshlrev_b64 v[0:1], 4, v[2:3]
	v_mov_b32_e32 v2, v14
	v_fma_f64 v[19:20], v[19:20], 2.0, -v[8:9]
	v_mad_u64_u32 v[2:3], s[0:1], s3, v15, v[2:3]
	v_or_b32_e32 v12, 0x50, v57
	v_add_co_u32_e32 v0, vcc, v56, v0
	v_mov_b32_e32 v14, v2
	v_mad_u64_u32 v[2:3], s[0:1], s2, v12, 0
	v_addc_co_u32_e32 v1, vcc, v80, v1, vcc
	global_store_dwordx4 v[0:1], v[19:22], off
	v_lshlrev_b64 v[0:1], 4, v[13:14]
	v_mad_u64_u32 v[12:13], s[0:1], s3, v12, v[3:4]
	v_or_b32_e32 v15, 0xb0, v57
	v_mad_u64_u32 v[13:14], s[0:1], s2, v15, 0
	v_fma_f64 v[43:44], v[76:77], 2.0, -v[6:7]
	v_add_co_u32_e32 v0, vcc, v56, v0
	v_addc_co_u32_e32 v1, vcc, v80, v1, vcc
	v_mov_b32_e32 v3, v12
	global_store_dwordx4 v[0:1], v[8:11], off
	v_lshlrev_b64 v[0:1], 4, v[2:3]
	v_mov_b32_e32 v2, v14
	v_mad_u64_u32 v[2:3], s[0:1], s3, v15, v[2:3]
	v_add_co_u32_e32 v0, vcc, v56, v0
	v_addc_co_u32_e32 v1, vcc, v80, v1, vcc
	v_mov_b32_e32 v14, v2
	global_store_dwordx4 v[0:1], v[41:44], off
	v_lshlrev_b64 v[0:1], 4, v[13:14]
	v_add_co_u32_e32 v0, vcc, v56, v0
	v_addc_co_u32_e32 v1, vcc, v80, v1, vcc
	global_store_dwordx4 v[0:1], v[4:7], off
.LBB0_15:
	s_endpgm
	.section	.rodata,"a",@progbits
	.p2align	6, 0x0
	.amdhsa_kernel fft_rtc_back_len192_factors_6_4_4_2_wgs_128_tpt_16_halfLds_dp_ip_CI_sbrr_dirReg
		.amdhsa_group_segment_fixed_size 0
		.amdhsa_private_segment_fixed_size 0
		.amdhsa_kernarg_size 88
		.amdhsa_user_sgpr_count 6
		.amdhsa_user_sgpr_private_segment_buffer 1
		.amdhsa_user_sgpr_dispatch_ptr 0
		.amdhsa_user_sgpr_queue_ptr 0
		.amdhsa_user_sgpr_kernarg_segment_ptr 1
		.amdhsa_user_sgpr_dispatch_id 0
		.amdhsa_user_sgpr_flat_scratch_init 0
		.amdhsa_user_sgpr_private_segment_size 0
		.amdhsa_uses_dynamic_stack 0
		.amdhsa_system_sgpr_private_segment_wavefront_offset 0
		.amdhsa_system_sgpr_workgroup_id_x 1
		.amdhsa_system_sgpr_workgroup_id_y 0
		.amdhsa_system_sgpr_workgroup_id_z 0
		.amdhsa_system_sgpr_workgroup_info 0
		.amdhsa_system_vgpr_workitem_id 0
		.amdhsa_next_free_vgpr 82
		.amdhsa_next_free_sgpr 24
		.amdhsa_reserve_vcc 1
		.amdhsa_reserve_flat_scratch 0
		.amdhsa_float_round_mode_32 0
		.amdhsa_float_round_mode_16_64 0
		.amdhsa_float_denorm_mode_32 3
		.amdhsa_float_denorm_mode_16_64 3
		.amdhsa_dx10_clamp 1
		.amdhsa_ieee_mode 1
		.amdhsa_fp16_overflow 0
		.amdhsa_exception_fp_ieee_invalid_op 0
		.amdhsa_exception_fp_denorm_src 0
		.amdhsa_exception_fp_ieee_div_zero 0
		.amdhsa_exception_fp_ieee_overflow 0
		.amdhsa_exception_fp_ieee_underflow 0
		.amdhsa_exception_fp_ieee_inexact 0
		.amdhsa_exception_int_div_zero 0
	.end_amdhsa_kernel
	.text
.Lfunc_end0:
	.size	fft_rtc_back_len192_factors_6_4_4_2_wgs_128_tpt_16_halfLds_dp_ip_CI_sbrr_dirReg, .Lfunc_end0-fft_rtc_back_len192_factors_6_4_4_2_wgs_128_tpt_16_halfLds_dp_ip_CI_sbrr_dirReg
                                        ; -- End function
	.section	.AMDGPU.csdata,"",@progbits
; Kernel info:
; codeLenInByte = 6704
; NumSgprs: 28
; NumVgprs: 82
; ScratchSize: 0
; MemoryBound: 1
; FloatMode: 240
; IeeeMode: 1
; LDSByteSize: 0 bytes/workgroup (compile time only)
; SGPRBlocks: 3
; VGPRBlocks: 20
; NumSGPRsForWavesPerEU: 28
; NumVGPRsForWavesPerEU: 82
; Occupancy: 3
; WaveLimiterHint : 1
; COMPUTE_PGM_RSRC2:SCRATCH_EN: 0
; COMPUTE_PGM_RSRC2:USER_SGPR: 6
; COMPUTE_PGM_RSRC2:TRAP_HANDLER: 0
; COMPUTE_PGM_RSRC2:TGID_X_EN: 1
; COMPUTE_PGM_RSRC2:TGID_Y_EN: 0
; COMPUTE_PGM_RSRC2:TGID_Z_EN: 0
; COMPUTE_PGM_RSRC2:TIDIG_COMP_CNT: 0
	.type	__hip_cuid_dd78b8cc7e2ec757,@object ; @__hip_cuid_dd78b8cc7e2ec757
	.section	.bss,"aw",@nobits
	.globl	__hip_cuid_dd78b8cc7e2ec757
__hip_cuid_dd78b8cc7e2ec757:
	.byte	0                               ; 0x0
	.size	__hip_cuid_dd78b8cc7e2ec757, 1

	.ident	"AMD clang version 19.0.0git (https://github.com/RadeonOpenCompute/llvm-project roc-6.4.0 25133 c7fe45cf4b819c5991fe208aaa96edf142730f1d)"
	.section	".note.GNU-stack","",@progbits
	.addrsig
	.addrsig_sym __hip_cuid_dd78b8cc7e2ec757
	.amdgpu_metadata
---
amdhsa.kernels:
  - .args:
      - .actual_access:  read_only
        .address_space:  global
        .offset:         0
        .size:           8
        .value_kind:     global_buffer
      - .offset:         8
        .size:           8
        .value_kind:     by_value
      - .actual_access:  read_only
        .address_space:  global
        .offset:         16
        .size:           8
        .value_kind:     global_buffer
      - .actual_access:  read_only
        .address_space:  global
        .offset:         24
        .size:           8
        .value_kind:     global_buffer
      - .offset:         32
        .size:           8
        .value_kind:     by_value
      - .actual_access:  read_only
        .address_space:  global
        .offset:         40
        .size:           8
        .value_kind:     global_buffer
      - .actual_access:  read_only
        .address_space:  global
        .offset:         48
        .size:           8
        .value_kind:     global_buffer
      - .offset:         56
        .size:           4
        .value_kind:     by_value
      - .actual_access:  read_only
        .address_space:  global
        .offset:         64
        .size:           8
        .value_kind:     global_buffer
      - .actual_access:  read_only
        .address_space:  global
        .offset:         72
        .size:           8
        .value_kind:     global_buffer
      - .address_space:  global
        .offset:         80
        .size:           8
        .value_kind:     global_buffer
    .group_segment_fixed_size: 0
    .kernarg_segment_align: 8
    .kernarg_segment_size: 88
    .language:       OpenCL C
    .language_version:
      - 2
      - 0
    .max_flat_workgroup_size: 128
    .name:           fft_rtc_back_len192_factors_6_4_4_2_wgs_128_tpt_16_halfLds_dp_ip_CI_sbrr_dirReg
    .private_segment_fixed_size: 0
    .sgpr_count:     28
    .sgpr_spill_count: 0
    .symbol:         fft_rtc_back_len192_factors_6_4_4_2_wgs_128_tpt_16_halfLds_dp_ip_CI_sbrr_dirReg.kd
    .uniform_work_group_size: 1
    .uses_dynamic_stack: false
    .vgpr_count:     82
    .vgpr_spill_count: 0
    .wavefront_size: 64
amdhsa.target:   amdgcn-amd-amdhsa--gfx906
amdhsa.version:
  - 1
  - 2
...

	.end_amdgpu_metadata
